;; amdgpu-corpus repo=ROCm/rocFFT kind=compiled arch=gfx1030 opt=O3
	.text
	.amdgcn_target "amdgcn-amd-amdhsa--gfx1030"
	.amdhsa_code_object_version 6
	.protected	fft_rtc_fwd_len847_factors_11_7_11_wgs_231_tpt_77_halfLds_sp_ip_CI_unitstride_sbrr_dirReg ; -- Begin function fft_rtc_fwd_len847_factors_11_7_11_wgs_231_tpt_77_halfLds_sp_ip_CI_unitstride_sbrr_dirReg
	.globl	fft_rtc_fwd_len847_factors_11_7_11_wgs_231_tpt_77_halfLds_sp_ip_CI_unitstride_sbrr_dirReg
	.p2align	8
	.type	fft_rtc_fwd_len847_factors_11_7_11_wgs_231_tpt_77_halfLds_sp_ip_CI_unitstride_sbrr_dirReg,@function
fft_rtc_fwd_len847_factors_11_7_11_wgs_231_tpt_77_halfLds_sp_ip_CI_unitstride_sbrr_dirReg: ; @fft_rtc_fwd_len847_factors_11_7_11_wgs_231_tpt_77_halfLds_sp_ip_CI_unitstride_sbrr_dirReg
; %bb.0:
	s_load_dwordx4 s[8:11], s[4:5], 0x0
	v_mul_u32_u24_e32 v1, 0x354, v0
	s_clause 0x1
	s_load_dwordx2 s[2:3], s[4:5], 0x50
	s_load_dwordx2 s[12:13], s[4:5], 0x18
	v_mov_b32_e32 v6, 0
	v_mov_b32_e32 v4, 0
	;; [unrolled: 1-line block ×3, first 2 shown]
	v_lshrrev_b32_e32 v1, 16, v1
	v_mad_u64_u32 v[2:3], null, s6, 3, v[1:2]
	v_mov_b32_e32 v3, v6
	v_mov_b32_e32 v11, v3
	;; [unrolled: 1-line block ×3, first 2 shown]
	s_waitcnt lgkmcnt(0)
	v_cmp_lt_u64_e64 s0, s[10:11], 2
	s_and_b32 vcc_lo, exec_lo, s0
	s_cbranch_vccnz .LBB0_8
; %bb.1:
	s_load_dwordx2 s[0:1], s[4:5], 0x10
	v_mov_b32_e32 v4, 0
	v_mov_b32_e32 v9, v3
	s_add_u32 s6, s12, 8
	v_mov_b32_e32 v5, 0
	v_mov_b32_e32 v8, v2
	s_addc_u32 s7, s13, 0
	s_mov_b64 s[16:17], 1
	s_waitcnt lgkmcnt(0)
	s_add_u32 s14, s0, 8
	s_addc_u32 s15, s1, 0
.LBB0_2:                                ; =>This Inner Loop Header: Depth=1
	s_load_dwordx2 s[18:19], s[14:15], 0x0
                                        ; implicit-def: $vgpr10_vgpr11
	s_mov_b32 s0, exec_lo
	s_waitcnt lgkmcnt(0)
	v_or_b32_e32 v7, s19, v9
	v_cmpx_ne_u64_e32 0, v[6:7]
	s_xor_b32 s1, exec_lo, s0
	s_cbranch_execz .LBB0_4
; %bb.3:                                ;   in Loop: Header=BB0_2 Depth=1
	v_cvt_f32_u32_e32 v1, s18
	v_cvt_f32_u32_e32 v3, s19
	s_sub_u32 s0, 0, s18
	s_subb_u32 s20, 0, s19
	v_fmac_f32_e32 v1, 0x4f800000, v3
	v_rcp_f32_e32 v1, v1
	v_mul_f32_e32 v1, 0x5f7ffffc, v1
	v_mul_f32_e32 v3, 0x2f800000, v1
	v_trunc_f32_e32 v3, v3
	v_fmac_f32_e32 v1, 0xcf800000, v3
	v_cvt_u32_f32_e32 v3, v3
	v_cvt_u32_f32_e32 v1, v1
	v_mul_lo_u32 v7, s0, v3
	v_mul_hi_u32 v10, s0, v1
	v_mul_lo_u32 v11, s20, v1
	v_add_nc_u32_e32 v7, v10, v7
	v_mul_lo_u32 v10, s0, v1
	v_add_nc_u32_e32 v7, v7, v11
	v_mul_hi_u32 v11, v1, v10
	v_mul_lo_u32 v12, v1, v7
	v_mul_hi_u32 v13, v1, v7
	v_mul_hi_u32 v14, v3, v10
	v_mul_lo_u32 v10, v3, v10
	v_mul_hi_u32 v15, v3, v7
	v_mul_lo_u32 v7, v3, v7
	v_add_co_u32 v11, vcc_lo, v11, v12
	v_add_co_ci_u32_e32 v12, vcc_lo, 0, v13, vcc_lo
	v_add_co_u32 v10, vcc_lo, v11, v10
	v_add_co_ci_u32_e32 v10, vcc_lo, v12, v14, vcc_lo
	v_add_co_ci_u32_e32 v11, vcc_lo, 0, v15, vcc_lo
	v_add_co_u32 v7, vcc_lo, v10, v7
	v_add_co_ci_u32_e32 v10, vcc_lo, 0, v11, vcc_lo
	v_add_co_u32 v1, vcc_lo, v1, v7
	v_add_co_ci_u32_e32 v3, vcc_lo, v3, v10, vcc_lo
	v_mul_hi_u32 v7, s0, v1
	v_mul_lo_u32 v11, s20, v1
	v_mul_lo_u32 v10, s0, v3
	v_add_nc_u32_e32 v7, v7, v10
	v_mul_lo_u32 v10, s0, v1
	v_add_nc_u32_e32 v7, v7, v11
	v_mul_hi_u32 v11, v1, v10
	v_mul_lo_u32 v12, v1, v7
	v_mul_hi_u32 v13, v1, v7
	v_mul_hi_u32 v14, v3, v10
	v_mul_lo_u32 v10, v3, v10
	v_mul_hi_u32 v15, v3, v7
	v_mul_lo_u32 v7, v3, v7
	v_add_co_u32 v11, vcc_lo, v11, v12
	v_add_co_ci_u32_e32 v12, vcc_lo, 0, v13, vcc_lo
	v_add_co_u32 v10, vcc_lo, v11, v10
	v_add_co_ci_u32_e32 v10, vcc_lo, v12, v14, vcc_lo
	v_add_co_ci_u32_e32 v11, vcc_lo, 0, v15, vcc_lo
	v_add_co_u32 v7, vcc_lo, v10, v7
	v_add_co_ci_u32_e32 v10, vcc_lo, 0, v11, vcc_lo
	v_add_co_u32 v1, vcc_lo, v1, v7
	v_add_co_ci_u32_e32 v3, vcc_lo, v3, v10, vcc_lo
	v_mul_hi_u32 v7, v8, v1
	v_mad_u64_u32 v[12:13], null, v9, v1, 0
	v_mad_u64_u32 v[10:11], null, v8, v3, 0
	v_mad_u64_u32 v[14:15], null, v9, v3, 0
	v_add_co_u32 v1, vcc_lo, v7, v10
	v_add_co_ci_u32_e32 v3, vcc_lo, 0, v11, vcc_lo
	v_add_co_u32 v1, vcc_lo, v1, v12
	v_add_co_ci_u32_e32 v1, vcc_lo, v3, v13, vcc_lo
	v_add_co_ci_u32_e32 v3, vcc_lo, 0, v15, vcc_lo
	v_add_co_u32 v1, vcc_lo, v1, v14
	v_add_co_ci_u32_e32 v3, vcc_lo, 0, v3, vcc_lo
	v_mul_lo_u32 v7, s19, v1
	v_mad_u64_u32 v[10:11], null, s18, v1, 0
	v_mul_lo_u32 v12, s18, v3
	v_sub_co_u32 v10, vcc_lo, v8, v10
	v_add3_u32 v7, v11, v12, v7
	v_sub_nc_u32_e32 v11, v9, v7
	v_subrev_co_ci_u32_e64 v11, s0, s19, v11, vcc_lo
	v_add_co_u32 v12, s0, v1, 2
	v_add_co_ci_u32_e64 v13, s0, 0, v3, s0
	v_sub_co_u32 v14, s0, v10, s18
	v_sub_co_ci_u32_e32 v7, vcc_lo, v9, v7, vcc_lo
	v_subrev_co_ci_u32_e64 v11, s0, 0, v11, s0
	v_cmp_le_u32_e32 vcc_lo, s18, v14
	v_cmp_eq_u32_e64 s0, s19, v7
	v_cndmask_b32_e64 v14, 0, -1, vcc_lo
	v_cmp_le_u32_e32 vcc_lo, s19, v11
	v_cndmask_b32_e64 v15, 0, -1, vcc_lo
	v_cmp_le_u32_e32 vcc_lo, s18, v10
	;; [unrolled: 2-line block ×3, first 2 shown]
	v_cndmask_b32_e64 v16, 0, -1, vcc_lo
	v_cmp_eq_u32_e32 vcc_lo, s19, v11
	v_cndmask_b32_e64 v7, v16, v10, s0
	v_cndmask_b32_e32 v11, v15, v14, vcc_lo
	v_add_co_u32 v14, vcc_lo, v1, 1
	v_add_co_ci_u32_e32 v15, vcc_lo, 0, v3, vcc_lo
	v_cmp_ne_u32_e32 vcc_lo, 0, v11
	v_cndmask_b32_e32 v10, v15, v13, vcc_lo
	v_cndmask_b32_e32 v12, v14, v12, vcc_lo
	v_cmp_ne_u32_e32 vcc_lo, 0, v7
	v_cndmask_b32_e32 v11, v3, v10, vcc_lo
	v_cndmask_b32_e32 v10, v1, v12, vcc_lo
.LBB0_4:                                ;   in Loop: Header=BB0_2 Depth=1
	s_andn2_saveexec_b32 s0, s1
	s_cbranch_execz .LBB0_6
; %bb.5:                                ;   in Loop: Header=BB0_2 Depth=1
	v_cvt_f32_u32_e32 v1, s18
	s_sub_i32 s1, 0, s18
	v_mov_b32_e32 v11, v6
	v_rcp_iflag_f32_e32 v1, v1
	v_mul_f32_e32 v1, 0x4f7ffffe, v1
	v_cvt_u32_f32_e32 v1, v1
	v_mul_lo_u32 v3, s1, v1
	v_mul_hi_u32 v3, v1, v3
	v_add_nc_u32_e32 v1, v1, v3
	v_mul_hi_u32 v1, v8, v1
	v_mul_lo_u32 v3, v1, s18
	v_add_nc_u32_e32 v7, 1, v1
	v_sub_nc_u32_e32 v3, v8, v3
	v_subrev_nc_u32_e32 v10, s18, v3
	v_cmp_le_u32_e32 vcc_lo, s18, v3
	v_cndmask_b32_e32 v3, v3, v10, vcc_lo
	v_cndmask_b32_e32 v1, v1, v7, vcc_lo
	v_cmp_le_u32_e32 vcc_lo, s18, v3
	v_add_nc_u32_e32 v7, 1, v1
	v_cndmask_b32_e32 v10, v1, v7, vcc_lo
.LBB0_6:                                ;   in Loop: Header=BB0_2 Depth=1
	s_or_b32 exec_lo, exec_lo, s0
	s_load_dwordx2 s[0:1], s[6:7], 0x0
	v_mul_lo_u32 v1, v11, s18
	v_mul_lo_u32 v3, v10, s19
	v_mad_u64_u32 v[12:13], null, v10, s18, 0
	s_add_u32 s16, s16, 1
	s_addc_u32 s17, s17, 0
	s_add_u32 s6, s6, 8
	s_addc_u32 s7, s7, 0
	;; [unrolled: 2-line block ×3, first 2 shown]
	v_add3_u32 v1, v13, v3, v1
	v_sub_co_u32 v3, vcc_lo, v8, v12
	v_sub_co_ci_u32_e32 v1, vcc_lo, v9, v1, vcc_lo
	s_waitcnt lgkmcnt(0)
	v_mul_lo_u32 v7, s1, v3
	v_mul_lo_u32 v1, s0, v1
	v_mad_u64_u32 v[4:5], null, s0, v3, v[4:5]
	v_cmp_ge_u64_e64 s0, s[16:17], s[10:11]
	s_and_b32 vcc_lo, exec_lo, s0
	v_add3_u32 v5, v7, v5, v1
	s_cbranch_vccnz .LBB0_8
; %bb.7:                                ;   in Loop: Header=BB0_2 Depth=1
	v_mov_b32_e32 v8, v10
	v_mov_b32_e32 v9, v11
	s_branch .LBB0_2
.LBB0_8:
	s_lshl_b64 s[0:1], s[10:11], 3
	v_mul_hi_u32 v1, 0x3531ded, v0
	s_add_u32 s0, s12, s0
	s_addc_u32 s1, s13, s1
	v_mov_b32_e32 v22, 0
	s_load_dwordx2 s[0:1], s[0:1], 0x0
	s_load_dwordx2 s[4:5], s[4:5], 0x20
	v_mov_b32_e32 v23, 0
	v_mov_b32_e32 v18, v22
                                        ; implicit-def: $vgpr37
                                        ; implicit-def: $vgpr31
                                        ; implicit-def: $vgpr16
                                        ; implicit-def: $vgpr12
                                        ; implicit-def: $vgpr29
                                        ; implicit-def: $vgpr35
                                        ; implicit-def: $vgpr33
                                        ; implicit-def: $vgpr8
	v_mul_u32_u24_e32 v1, 0x4d, v1
	v_mov_b32_e32 v19, v23
	v_sub_nc_u32_e32 v0, v0, v1
	s_waitcnt lgkmcnt(0)
	v_mul_lo_u32 v6, s0, v11
	v_mul_lo_u32 v7, s1, v10
	v_mad_u64_u32 v[3:4], null, s0, v10, v[4:5]
	v_cmp_gt_u64_e32 vcc_lo, s[4:5], v[10:11]
                                        ; implicit-def: $vgpr10
	v_add3_u32 v4, v7, v4, v6
                                        ; implicit-def: $vgpr6
	v_lshlrev_b64 v[20:21], 3, v[3:4]
	s_and_saveexec_b32 s1, vcc_lo
	s_cbranch_execz .LBB0_10
; %bb.9:
	v_mov_b32_e32 v1, 0
	v_add_co_u32 v5, s0, s2, v20
	v_add_co_ci_u32_e64 v6, s0, s3, v21, s0
	v_lshlrev_b64 v[3:4], 3, v[0:1]
	v_mov_b32_e32 v23, v1
	v_mov_b32_e32 v22, v0
	v_add_co_u32 v3, s0, v5, v3
	v_add_co_ci_u32_e64 v4, s0, v6, v4, s0
	s_clause 0x3
	global_load_dwordx2 v[18:19], v[3:4], off
	global_load_dwordx2 v[36:37], v[3:4], off offset:616
	global_load_dwordx2 v[30:31], v[3:4], off offset:1232
	;; [unrolled: 1-line block ×3, first 2 shown]
	v_add_co_u32 v7, s0, 0x800, v3
	v_add_co_ci_u32_e64 v8, s0, 0, v4, s0
	v_add_co_u32 v13, s0, 0x1000, v3
	v_add_co_ci_u32_e64 v14, s0, 0, v4, s0
	;; [unrolled: 2-line block ×3, first 2 shown]
	s_clause 0x6
	global_load_dwordx2 v[9:10], v[7:8], off offset:416
	global_load_dwordx2 v[5:6], v[7:8], off offset:1032
	;; [unrolled: 1-line block ×7, first 2 shown]
.LBB0_10:
	s_or_b32 exec_lo, exec_lo, s1
	s_waitcnt vmcnt(9)
	v_add_f32_e32 v1, v36, v18
	v_mul_hi_u32 v3, 0xaaaaaaab, v2
	s_waitcnt vmcnt(0)
	v_add_f32_e32 v4, v36, v32
	v_sub_f32_e32 v13, v37, v33
	v_add_f32_e32 v14, v30, v34
	v_add_f32_e32 v1, v30, v1
	v_sub_f32_e32 v17, v31, v35
	v_mul_f32_e32 v24, 0x3f575c64, v4
	v_mul_f32_e32 v25, 0x3ed4b147, v4
	v_lshrrev_b32_e32 v3, 1, v3
	v_add_f32_e32 v1, v15, v1
	v_mul_f32_e32 v26, 0xbe11bafb, v4
	v_mul_f32_e32 v27, 0xbf27a4f4, v4
	;; [unrolled: 1-line block ×3, first 2 shown]
	v_lshl_add_u32 v3, v3, 1, v3
	v_add_f32_e32 v1, v9, v1
	v_mul_f32_e32 v38, 0x3ed4b147, v14
	v_fmamk_f32 v39, v13, 0x3f0a6770, v24
	v_fmac_f32_e32 v24, 0xbf0a6770, v13
	v_sub_nc_u32_e32 v2, v2, v3
	v_add_f32_e32 v1, v5, v1
	v_fmamk_f32 v41, v13, 0x3f68dda4, v25
	v_fmac_f32_e32 v25, 0xbf68dda4, v13
	v_fmamk_f32 v42, v13, 0x3f7d64f0, v26
	v_fmac_f32_e32 v26, 0xbf7d64f0, v13
	v_add_f32_e32 v1, v7, v1
	v_fmamk_f32 v43, v13, 0x3f4178ce, v27
	v_fmac_f32_e32 v27, 0xbf4178ce, v13
	v_fmamk_f32 v44, v13, 0x3e903f40, v4
	v_fmac_f32_e32 v4, 0xbe903f40, v13
	v_add_f32_e32 v1, v11, v1
	v_fmamk_f32 v13, v17, 0x3f68dda4, v38
	v_add_f32_e32 v45, v39, v18
	v_add_f32_e32 v24, v24, v18
	v_mul_u32_u24_e32 v39, 0x34f, v2
	v_add_f32_e32 v1, v28, v1
	v_fmac_f32_e32 v38, 0xbf68dda4, v17
	v_mul_f32_e32 v2, 0xbf75a155, v14
	v_mul_f32_e32 v40, 0xbf27a4f4, v14
	v_add_f32_e32 v41, v41, v18
	v_add_f32_e32 v1, v34, v1
	;; [unrolled: 1-line block ×11, first 2 shown]
	v_fmamk_f32 v24, v17, 0xbe903f40, v2
	v_fmac_f32_e32 v2, 0x3e903f40, v17
	v_fmamk_f32 v4, v17, 0x3f4178ce, v40
	v_fmac_f32_e32 v40, 0xbf4178ce, v17
	v_mul_f32_e32 v38, 0xbe11bafb, v14
	v_mul_f32_e32 v14, 0x3f575c64, v14
	v_add_f32_e32 v2, v2, v26
	v_add_f32_e32 v26, v15, v28
	;; [unrolled: 1-line block ×6, first 2 shown]
	v_fmamk_f32 v40, v17, 0xbf7d64f0, v38
	v_fmac_f32_e32 v38, 0x3f7d64f0, v17
	v_fmamk_f32 v41, v17, 0xbf0a6770, v14
	v_sub_f32_e32 v42, v16, v29
	v_mul_f32_e32 v45, 0xbe11bafb, v26
	v_fmac_f32_e32 v14, 0x3f0a6770, v17
	v_add_f32_e32 v3, v40, v3
	v_add_f32_e32 v17, v38, v27
	v_mul_f32_e32 v40, 0xbf75a155, v26
	v_fmamk_f32 v38, v42, 0x3f7d64f0, v45
	v_add_f32_e32 v1, v14, v1
	v_mul_f32_e32 v14, 0x3ed4b147, v26
	v_add_f32_e32 v27, v41, v43
	v_fmac_f32_e32 v45, 0xbf7d64f0, v42
	v_add_f32_e32 v13, v38, v13
	v_fmamk_f32 v38, v42, 0xbe903f40, v40
	v_fmamk_f32 v41, v42, 0xbf68dda4, v14
	v_fmac_f32_e32 v14, 0x3f68dda4, v42
	v_fmac_f32_e32 v40, 0x3e903f40, v42
	v_add_f32_e32 v18, v45, v18
	v_add_f32_e32 v4, v38, v4
	v_mul_f32_e32 v38, 0x3f575c64, v26
	v_add_f32_e32 v2, v14, v2
	v_add_f32_e32 v14, v9, v11
	;; [unrolled: 1-line block ×4, first 2 shown]
	v_mul_f32_e32 v26, 0xbf27a4f4, v26
	v_fmamk_f32 v40, v42, 0x3f0a6770, v38
	v_fmac_f32_e32 v38, 0xbf0a6770, v42
	v_sub_f32_e32 v41, v10, v12
	v_mul_f32_e32 v43, 0xbf27a4f4, v14
	v_fmamk_f32 v45, v42, 0x3f4178ce, v26
	v_add_f32_e32 v3, v40, v3
	v_add_f32_e32 v17, v38, v17
	v_fmac_f32_e32 v26, 0xbf4178ce, v42
	v_fmamk_f32 v38, v41, 0x3f4178ce, v43
	v_mul_f32_e32 v40, 0xbe11bafb, v14
	v_fmac_f32_e32 v43, 0xbf4178ce, v41
	v_mul_f32_e32 v42, 0xbf75a155, v14
	v_add_f32_e32 v1, v26, v1
	v_add_f32_e32 v13, v38, v13
	v_mul_f32_e32 v26, 0x3f575c64, v14
	v_fmamk_f32 v38, v41, 0xbf7d64f0, v40
	v_add_f32_e32 v18, v43, v18
	v_fmac_f32_e32 v40, 0x3f7d64f0, v41
	v_mul_f32_e32 v14, 0x3ed4b147, v14
	v_fmamk_f32 v43, v41, 0x3f0a6770, v26
	v_add_f32_e32 v38, v38, v4
	v_fmac_f32_e32 v26, 0xbf0a6770, v41
	v_fmamk_f32 v4, v41, 0x3e903f40, v42
	v_add_f32_e32 v27, v45, v27
	v_add_f32_e32 v25, v40, v25
	;; [unrolled: 1-line block ×6, first 2 shown]
	v_fmamk_f32 v3, v41, 0xbf68dda4, v14
	v_fmac_f32_e32 v42, 0xbe903f40, v41
	v_sub_f32_e32 v43, v6, v8
	v_mul_f32_e32 v4, 0xbf75a155, v26
	v_fmac_f32_e32 v14, 0x3f68dda4, v41
	v_add_f32_e32 v27, v3, v27
	v_mul_f32_e32 v3, 0x3f575c64, v26
	v_add_f32_e32 v17, v42, v17
	v_fmamk_f32 v41, v43, 0x3e903f40, v4
	v_add_f32_e32 v14, v14, v1
	v_mul_f32_e32 v42, 0xbf27a4f4, v26
	v_fmac_f32_e32 v4, 0xbe903f40, v43
	v_fmamk_f32 v1, v43, 0xbf0a6770, v3
	v_fmac_f32_e32 v3, 0x3f0a6770, v43
	v_add_f32_e32 v13, v41, v13
	v_fmamk_f32 v41, v43, 0x3f4178ce, v42
	v_add_f32_e32 v4, v4, v18
	v_add_f32_e32 v18, v1, v38
	v_mul_f32_e32 v1, 0x3ed4b147, v26
	v_add_f32_e32 v3, v3, v25
	v_mul_f32_e32 v25, 0xbe11bafb, v26
	v_lshl_add_u32 v38, v39, 2, 0
	v_add_f32_e32 v24, v41, v24
	v_fmac_f32_e32 v42, 0xbf4178ce, v43
	v_fmamk_f32 v26, v43, 0xbf68dda4, v1
	v_fmac_f32_e32 v1, 0x3f68dda4, v43
	v_fmamk_f32 v41, v43, 0x3f7d64f0, v25
	v_fmac_f32_e32 v25, 0xbf7d64f0, v43
	v_mad_u32_u24 v43, v0, 44, v38
	v_add_f32_e32 v2, v42, v2
	v_add_f32_e32 v26, v26, v40
	;; [unrolled: 1-line block ×4, first 2 shown]
	v_mad_i32_i24 v42, 0xffffffd8, v0, v43
	v_add_f32_e32 v14, v25, v14
	v_lshl_add_u32 v38, v0, 2, v38
	ds_write2_b32 v43, v44, v13 offset1:1
	ds_write2_b32 v43, v18, v24 offset0:2 offset1:3
	ds_write2_b32 v43, v26, v17 offset0:4 offset1:5
	;; [unrolled: 1-line block ×4, first 2 shown]
	ds_write_b32 v43, v4 offset:40
	v_add_nc_u32_e32 v44, 0x400, v42
	v_add_nc_u32_e32 v45, 0x800, v42
	s_waitcnt lgkmcnt(0)
	s_barrier
	buffer_gl0_inv
	ds_read_b32 v40, v38
	ds_read2_b32 v[26:27], v42 offset0:121 offset1:242
	ds_read2_b32 v[24:25], v44 offset0:107 offset1:228
	;; [unrolled: 1-line block ×3, first 2 shown]
	v_cmp_gt_u32_e64 s0, 44, v0
                                        ; implicit-def: $vgpr13
                                        ; implicit-def: $vgpr41
	s_and_saveexec_b32 s1, s0
	s_cbranch_execz .LBB0_12
; %bb.11:
	ds_read2_b32 v[1:2], v42 offset0:77 offset1:198
	ds_read2_b32 v[3:4], v44 offset0:63 offset1:184
	;; [unrolled: 1-line block ×3, first 2 shown]
	ds_read_b32 v41, v42 offset:3212
.LBB0_12:
	s_or_b32 exec_lo, exec_lo, s1
	v_add_f32_e32 v46, v37, v19
	v_sub_f32_e32 v32, v36, v32
	v_add_f32_e32 v36, v37, v33
	v_add_f32_e32 v37, v31, v35
	v_sub_f32_e32 v30, v30, v34
	v_add_f32_e32 v31, v31, v46
	v_mul_f32_e32 v46, 0xbf68dda4, v32
	v_mul_f32_e32 v47, 0xbf7d64f0, v32
	;; [unrolled: 1-line block ×4, first 2 shown]
	v_add_f32_e32 v31, v16, v31
	v_fmamk_f32 v53, v36, 0x3ed4b147, v46
	v_fma_f32 v46, 0x3ed4b147, v36, -v46
	v_mul_f32_e32 v48, 0xbf4178ce, v32
	v_mul_f32_e32 v32, 0xbe903f40, v32
	v_add_f32_e32 v31, v10, v31
	v_mul_f32_e32 v51, 0x3e903f40, v30
	v_fmamk_f32 v54, v36, 0xbe11bafb, v47
	v_fma_f32 v47, 0xbe11bafb, v36, -v47
	v_add_f32_e32 v46, v46, v19
	v_add_f32_e32 v31, v6, v31
	v_mul_f32_e32 v49, 0xbf68dda4, v30
	v_fmamk_f32 v52, v36, 0x3f575c64, v34
	v_fmamk_f32 v55, v36, 0xbf27a4f4, v48
	v_fma_f32 v48, 0xbf27a4f4, v36, -v48
	v_add_f32_e32 v31, v8, v31
	v_fmamk_f32 v56, v36, 0xbf75a155, v32
	v_fmamk_f32 v57, v37, 0xbf27a4f4, v50
	v_add_f32_e32 v47, v47, v19
	v_sub_f32_e32 v15, v15, v28
	v_add_f32_e32 v31, v12, v31
	v_fma_f32 v34, 0x3f575c64, v36, -v34
	v_fma_f32 v32, 0xbf75a155, v36, -v32
	v_fmamk_f32 v36, v37, 0x3ed4b147, v49
	v_add_f32_e32 v52, v52, v19
	v_add_f32_e32 v31, v29, v31
	;; [unrolled: 1-line block ×3, first 2 shown]
	v_mul_f32_e32 v29, 0xbf7d64f0, v15
	v_fma_f32 v49, 0x3ed4b147, v37, -v49
	v_add_f32_e32 v34, v34, v19
	v_add_f32_e32 v31, v35, v31
	;; [unrolled: 1-line block ×7, first 2 shown]
	v_fma_f32 v33, 0xbf27a4f4, v37, -v50
	v_fma_f32 v50, 0xbf75a155, v37, -v51
	v_add_f32_e32 v55, v55, v19
	v_add_f32_e32 v19, v32, v19
	;; [unrolled: 1-line block ×4, first 2 shown]
	v_mul_f32_e32 v46, 0x3f7d64f0, v30
	v_mul_f32_e32 v30, 0x3f0a6770, v30
	v_add_f32_e32 v47, v50, v47
	v_fmamk_f32 v36, v37, 0xbf75a155, v51
	v_add_f32_e32 v34, v49, v34
	v_fmamk_f32 v28, v37, 0xbe11bafb, v46
	v_fma_f32 v46, 0xbe11bafb, v37, -v46
	v_fmamk_f32 v50, v37, 0x3f575c64, v30
	v_fma_f32 v30, 0x3f575c64, v37, -v30
	v_add_f32_e32 v36, v36, v54
	v_sub_f32_e32 v9, v9, v11
	v_add_f32_e32 v35, v46, v35
	v_add_f32_e32 v37, v50, v48
	v_fmamk_f32 v46, v16, 0xbe11bafb, v29
	v_mul_f32_e32 v48, 0x3e903f40, v15
	v_add_f32_e32 v19, v30, v19
	v_fma_f32 v29, 0xbe11bafb, v16, -v29
	v_mul_f32_e32 v30, 0x3f68dda4, v15
	v_add_f32_e32 v32, v46, v32
	v_fmamk_f32 v46, v16, 0xbf75a155, v48
	v_fma_f32 v48, 0xbf75a155, v16, -v48
	v_add_f32_e32 v29, v29, v34
	v_fmamk_f32 v34, v16, 0x3ed4b147, v30
	v_add_f32_e32 v28, v28, v55
	v_fma_f32 v30, 0x3ed4b147, v16, -v30
	v_add_f32_e32 v33, v48, v33
	v_mul_f32_e32 v48, 0xbf0a6770, v15
	v_add_f32_e32 v34, v34, v36
	v_mul_f32_e32 v11, 0xbf4178ce, v15
	;; [unrolled: 2-line block ×3, first 2 shown]
	v_fmamk_f32 v15, v16, 0x3f575c64, v48
	v_fma_f32 v36, 0x3f575c64, v16, -v48
	v_add_f32_e32 v30, v30, v47
	v_fmamk_f32 v47, v16, 0xbf27a4f4, v11
	v_fma_f32 v11, 0xbf27a4f4, v16, -v11
	v_add_f32_e32 v15, v15, v28
	v_add_f32_e32 v28, v36, v35
	v_fmamk_f32 v16, v10, 0xbf27a4f4, v12
	v_mul_f32_e32 v36, 0x3f7d64f0, v9
	v_fma_f32 v12, 0xbf27a4f4, v10, -v12
	v_add_f32_e32 v11, v11, v19
	v_mul_f32_e32 v19, 0xbf0a6770, v9
	v_add_f32_e32 v16, v16, v32
	v_fmamk_f32 v32, v10, 0xbe11bafb, v36
	v_add_f32_e32 v12, v12, v29
	v_fma_f32 v29, 0xbe11bafb, v10, -v36
	v_mul_f32_e32 v36, 0xbe903f40, v9
	v_add_f32_e32 v49, v57, v53
	v_add_f32_e32 v35, v47, v37
	v_fmamk_f32 v37, v10, 0x3f575c64, v19
	v_fma_f32 v19, 0x3f575c64, v10, -v19
	v_mul_f32_e32 v9, 0x3f68dda4, v9
	v_sub_f32_e32 v5, v5, v7
	v_fma_f32 v7, 0xbf75a155, v10, -v36
	v_add_f32_e32 v46, v46, v49
	v_add_f32_e32 v29, v29, v33
	v_fmamk_f32 v33, v10, 0xbf75a155, v36
	v_add_f32_e32 v19, v19, v30
	v_fmamk_f32 v30, v10, 0x3ed4b147, v9
	v_add_f32_e32 v6, v6, v8
	v_mul_f32_e32 v8, 0xbe903f40, v5
	v_fma_f32 v9, 0x3ed4b147, v10, -v9
	v_add_f32_e32 v10, v7, v28
	v_mul_f32_e32 v7, 0x3f0a6770, v5
	v_add_f32_e32 v32, v32, v46
	v_add_f32_e32 v15, v33, v15
	;; [unrolled: 1-line block ×3, first 2 shown]
	v_fmamk_f32 v30, v6, 0xbf75a155, v8
	v_fmamk_f32 v33, v6, 0x3f575c64, v7
	v_add_f32_e32 v9, v9, v11
	v_fma_f32 v8, 0xbf75a155, v6, -v8
	v_mul_f32_e32 v11, 0xbf4178ce, v5
	v_add_f32_e32 v16, v30, v16
	v_fma_f32 v7, 0x3f575c64, v6, -v7
	v_add_f32_e32 v30, v33, v32
	v_mul_f32_e32 v32, 0x3f68dda4, v5
	v_mul_f32_e32 v5, 0xbf7d64f0, v5
	v_add_f32_e32 v34, v37, v34
	v_add_f32_e32 v8, v8, v12
	v_fmamk_f32 v12, v6, 0xbf27a4f4, v11
	v_add_f32_e32 v7, v7, v29
	v_fma_f32 v11, 0xbf27a4f4, v6, -v11
	v_fmamk_f32 v29, v6, 0x3ed4b147, v32
	v_fma_f32 v32, 0x3ed4b147, v6, -v32
	v_fmamk_f32 v33, v6, 0xbe11bafb, v5
	v_add_f32_e32 v12, v12, v34
	v_fma_f32 v34, 0xbe11bafb, v6, -v5
	v_add_f32_e32 v6, v11, v19
	v_add_f32_e32 v11, v29, v15
	;; [unrolled: 1-line block ×5, first 2 shown]
	s_waitcnt lgkmcnt(0)
	s_barrier
	buffer_gl0_inv
	ds_write2_b32 v43, v31, v16 offset1:1
	ds_write2_b32 v43, v30, v12 offset0:2 offset1:3
	ds_write2_b32 v43, v11, v10 offset0:4 offset1:5
	;; [unrolled: 1-line block ×4, first 2 shown]
	ds_write_b32 v43, v8 offset:40
	s_waitcnt lgkmcnt(0)
	s_barrier
	buffer_gl0_inv
	ds_read_b32 v19, v38
	ds_read2_b32 v[28:29], v42 offset0:121 offset1:242
	ds_read2_b32 v[15:16], v44 offset0:107 offset1:228
	;; [unrolled: 1-line block ×3, first 2 shown]
                                        ; implicit-def: $vgpr9
                                        ; implicit-def: $vgpr30
	s_and_saveexec_b32 s1, s0
	s_cbranch_execz .LBB0_14
; %bb.13:
	v_add_nc_u32_e32 v7, 0x400, v42
	v_add_nc_u32_e32 v9, 0x800, v42
	ds_read2_b32 v[5:6], v42 offset0:77 offset1:198
	ds_read2_b32 v[7:8], v7 offset0:63 offset1:184
	;; [unrolled: 1-line block ×3, first 2 shown]
	ds_read_b32 v30, v42 offset:3212
.LBB0_14:
	s_or_b32 exec_lo, exec_lo, s1
	v_and_b32_e32 v31, 0xff, v0
	v_add_nc_u16 v33, v0, 0x4d
	v_mov_b32_e32 v36, 6
	v_mul_lo_u16 v31, 0x75, v31
	v_and_b32_e32 v34, 0xff, v33
	v_lshrrev_b16 v31, 8, v31
	v_mul_lo_u16 v34, 0x75, v34
	v_sub_nc_u16 v32, v0, v31
	v_lshrrev_b16 v32, 1, v32
	v_and_b32_e32 v32, 0x7f, v32
	v_add_nc_u16 v31, v32, v31
	v_lshrrev_b16 v32, 8, v34
	v_lshrrev_b16 v31, 3, v31
	v_sub_nc_u16 v34, v33, v32
	v_mul_lo_u16 v35, v31, 11
	v_lshrrev_b16 v34, 1, v34
	v_and_b32_e32 v31, 0xffff, v31
	v_sub_nc_u16 v37, v0, v35
	v_and_b32_e32 v34, 0x7f, v34
	v_mad_u32_u24 v31, 0x134, v31, 0
	v_mul_u32_u24_sdwa v35, v37, v36 dst_sel:DWORD dst_unused:UNUSED_PAD src0_sel:BYTE_0 src1_sel:DWORD
	v_add_nc_u16 v32, v34, v32
	v_lshlrev_b32_e32 v34, 3, v35
	v_lshrrev_b16 v42, 3, v32
	v_lshlrev_b32_e32 v35, 2, v39
	global_load_dwordx4 v[47:50], v34, s[8:9]
	v_mul_lo_u16 v32, v42, 11
	s_clause 0x1
	global_load_dwordx4 v[51:54], v34, s[8:9] offset:16
	global_load_dwordx4 v[55:58], v34, s[8:9] offset:32
	v_sub_nc_u16 v34, v33, v32
	v_mul_u32_u24_sdwa v32, v34, v36 dst_sel:DWORD dst_unused:UNUSED_PAD src0_sel:BYTE_0 src1_sel:DWORD
	v_lshlrev_b32_e32 v32, 3, v32
	s_clause 0x2
	global_load_dwordx4 v[59:62], v32, s[8:9]
	global_load_dwordx4 v[63:66], v32, s[8:9] offset:16
	global_load_dwordx4 v[67:70], v32, s[8:9] offset:32
	v_mov_b32_e32 v32, 2
	s_waitcnt vmcnt(0) lgkmcnt(0)
	s_barrier
	buffer_gl0_inv
	v_lshlrev_b32_sdwa v33, v32, v37 dst_sel:DWORD dst_unused:UNUSED_PAD src0_sel:DWORD src1_sel:BYTE_0
	v_and_b32_e32 v37, 0xffff, v42
	v_add3_u32 v39, v31, v33, v35
	v_mul_f32_e32 v42, v28, v48
	v_mul_f32_e32 v71, v29, v50
	;; [unrolled: 1-line block ×12, first 2 shown]
	v_fma_f32 v45, v26, v47, -v42
	v_fma_f32 v26, v27, v49, -v71
	v_fmac_f32_e32 v33, v28, v47
	v_fmac_f32_e32 v36, v15, v51
	v_fma_f32 v27, v17, v55, -v52
	v_fmac_f32_e32 v44, v11, v55
	v_fma_f32 v28, v18, v57, -v54
	v_mul_f32_e32 v15, v3, v62
	v_mul_f32_e32 v11, v4, v64
	v_fmac_f32_e32 v31, v29, v49
	v_fma_f32 v24, v24, v51, -v48
	v_fma_f32 v25, v25, v53, -v50
	v_fmac_f32_e32 v43, v16, v53
	v_fmac_f32_e32 v46, v12, v57
	v_mul_f32_e32 v18, v6, v60
	v_mul_f32_e32 v12, v2, v60
	;; [unrolled: 1-line block ×6, first 2 shown]
	v_fmac_f32_e32 v15, v7, v61
	v_fmac_f32_e32 v11, v8, v63
	v_add_f32_e32 v7, v45, v28
	v_add_f32_e32 v8, v26, v27
	v_mul_f32_e32 v16, v13, v66
	v_mul_f32_e32 v17, v14, v68
	v_fma_f32 v18, v2, v59, -v18
	v_fmac_f32_e32 v12, v6, v59
	v_fma_f32 v2, v3, v61, -v29
	v_fma_f32 v3, v4, v63, -v47
	;; [unrolled: 1-line block ×4, first 2 shown]
	v_add_f32_e32 v13, v24, v25
	v_sub_f32_e32 v14, v31, v44
	v_sub_f32_e32 v29, v43, v36
	v_add_f32_e32 v47, v8, v7
	v_fmac_f32_e32 v16, v9, v65
	v_sub_f32_e32 v9, v33, v46
	v_sub_f32_e32 v48, v8, v7
	;; [unrolled: 1-line block ×4, first 2 shown]
	v_add_f32_e32 v49, v29, v14
	v_sub_f32_e32 v51, v29, v14
	v_add_f32_e32 v13, v13, v47
	v_sub_f32_e32 v14, v14, v9
	v_sub_f32_e32 v29, v9, v29
	v_add_f32_e32 v9, v49, v9
	v_mul_f32_e32 v7, 0x3f4a47b2, v7
	v_mul_f32_e32 v49, 0xbf08b237, v51
	v_add_f32_e32 v40, v40, v13
	v_mul_f32_e32 v47, 0x3d64c772, v8
	v_mul_f32_e32 v51, 0x3f5ff5aa, v14
	v_fmamk_f32 v8, v8, 0x3d64c772, v7
	v_fmamk_f32 v52, v29, 0x3eae86e6, v49
	v_fmamk_f32 v13, v13, 0xbf955555, v40
	v_fma_f32 v47, 0x3f3bfb3b, v48, -v47
	v_fma_f32 v14, 0x3f5ff5aa, v14, -v49
	;; [unrolled: 1-line block ×4, first 2 shown]
	v_mul_f32_e32 v50, v30, v70
	v_mul_f32_e32 v42, v41, v70
	v_fmac_f32_e32 v52, 0x3ee1c552, v9
	v_add_f32_e32 v8, v8, v13
	v_fmac_f32_e32 v14, 0x3ee1c552, v9
	v_fmac_f32_e32 v29, 0x3ee1c552, v9
	v_add_f32_e32 v9, v7, v13
	v_add_f32_e32 v13, v47, v13
	v_fmac_f32_e32 v17, v10, v67
	v_fma_f32 v7, v41, v69, -v50
	v_add_f32_e32 v10, v52, v8
	v_fmac_f32_e32 v42, v30, v69
	v_add_f32_e32 v41, v29, v9
	v_sub_f32_e32 v47, v13, v14
	v_add_f32_e32 v13, v14, v13
	v_sub_f32_e32 v9, v9, v29
	v_sub_f32_e32 v8, v8, v52
	ds_write2_b32 v39, v40, v10 offset1:11
	ds_write2_b32 v39, v41, v47 offset0:22 offset1:33
	ds_write2_b32 v39, v13, v9 offset0:44 offset1:55
	ds_write_b32 v39, v8 offset:264
	s_and_saveexec_b32 s1, s0
	s_cbranch_execz .LBB0_16
; %bb.15:
	v_add_f32_e32 v8, v18, v7
	v_add_f32_e32 v9, v2, v6
	;; [unrolled: 1-line block ×3, first 2 shown]
	v_sub_f32_e32 v13, v12, v42
	v_sub_f32_e32 v14, v16, v11
	;; [unrolled: 1-line block ×3, first 2 shown]
	v_add_f32_e32 v29, v9, v8
	v_sub_f32_e32 v40, v8, v10
	v_sub_f32_e32 v41, v10, v9
	;; [unrolled: 1-line block ×4, first 2 shown]
	v_add_f32_e32 v10, v10, v29
	v_sub_f32_e32 v29, v14, v30
	v_add_f32_e32 v14, v14, v30
	v_sub_f32_e32 v30, v30, v13
	v_mul_f32_e32 v9, 0x3f4a47b2, v40
	v_add_f32_e32 v1, v1, v10
	v_mul_f32_e32 v40, 0x3d64c772, v41
	v_mul_f32_e32 v29, 0xbf08b237, v29
	;; [unrolled: 1-line block ×3, first 2 shown]
	v_fmamk_f32 v41, v41, 0x3d64c772, v9
	v_fmamk_f32 v10, v10, 0xbf955555, v1
	v_add_f32_e32 v13, v14, v13
	v_fmamk_f32 v14, v47, 0x3eae86e6, v29
	v_fma_f32 v9, 0xbf3bfb3b, v8, -v9
	v_fma_f32 v47, 0xbeae86e6, v47, -v48
	;; [unrolled: 1-line block ×4, first 2 shown]
	v_add_f32_e32 v41, v41, v10
	v_fmac_f32_e32 v14, 0x3ee1c552, v13
	v_add_f32_e32 v9, v9, v10
	v_fmac_f32_e32 v47, 0x3ee1c552, v13
	v_fmac_f32_e32 v29, 0x3ee1c552, v13
	v_add_f32_e32 v8, v8, v10
	v_mad_u32_u24 v10, 0x134, v37, 0
	v_lshlrev_b32_sdwa v13, v32, v34 dst_sel:DWORD dst_unused:UNUSED_PAD src0_sel:DWORD src1_sel:BYTE_0
	v_add_f32_e32 v40, v14, v41
	v_sub_f32_e32 v30, v9, v47
	v_sub_f32_e32 v32, v8, v29
	v_add_f32_e32 v9, v47, v9
	v_add3_u32 v10, v10, v13, v35
	v_add_f32_e32 v8, v29, v8
	v_sub_f32_e32 v13, v41, v14
	ds_write2_b32 v10, v1, v40 offset1:11
	ds_write2_b32 v10, v9, v32 offset0:22 offset1:33
	ds_write2_b32 v10, v8, v30 offset0:44 offset1:55
	ds_write_b32 v10, v13 offset:264
.LBB0_16:
	s_or_b32 exec_lo, exec_lo, s1
	v_add_f32_e32 v1, v33, v46
	v_add_f32_e32 v8, v31, v44
	v_add_f32_e32 v10, v36, v43
	v_sub_f32_e32 v13, v26, v27
	v_sub_f32_e32 v14, v25, v24
	;; [unrolled: 1-line block ×3, first 2 shown]
	v_add_f32_e32 v24, v8, v1
	v_sub_f32_e32 v25, v8, v1
	v_sub_f32_e32 v1, v1, v10
	;; [unrolled: 1-line block ×3, first 2 shown]
	v_add_f32_e32 v26, v14, v13
	v_add_f32_e32 v10, v10, v24
	v_sub_f32_e32 v24, v14, v13
	v_sub_f32_e32 v14, v9, v14
	v_sub_f32_e32 v13, v13, v9
	v_add_f32_e32 v9, v26, v9
	v_mul_f32_e32 v1, 0x3f4a47b2, v1
	v_mul_f32_e32 v26, 0x3d64c772, v8
	v_add_f32_e32 v19, v19, v10
	v_mul_f32_e32 v24, 0xbf08b237, v24
	v_mul_f32_e32 v27, 0x3f5ff5aa, v13
	v_fmamk_f32 v8, v8, 0x3d64c772, v1
	v_fma_f32 v26, 0x3f3bfb3b, v25, -v26
	v_fma_f32 v1, 0xbf3bfb3b, v25, -v1
	v_lshlrev_b32_e32 v25, 2, v0
	v_fmamk_f32 v10, v10, 0xbf955555, v19
	v_fmamk_f32 v41, v14, 0x3eae86e6, v24
	v_fma_f32 v13, 0x3f5ff5aa, v13, -v24
	v_fma_f32 v14, 0xbeae86e6, v14, -v27
	v_add3_u32 v40, 0, v25, v35
	v_add_f32_e32 v43, v26, v10
	s_waitcnt lgkmcnt(0)
	s_barrier
	buffer_gl0_inv
	v_add_nc_u32_e32 v24, 0x200, v40
	v_add_nc_u32_e32 v25, 0x400, v40
	;; [unrolled: 1-line block ×4, first 2 shown]
	ds_read_b32 v36, v38
	ds_read2_b32 v[30:31], v40 offset0:77 offset1:154
	ds_read2_b32 v[26:27], v24 offset0:103 offset1:180
	;; [unrolled: 1-line block ×5, first 2 shown]
	v_add_f32_e32 v8, v8, v10
	v_fmac_f32_e32 v41, 0x3ee1c552, v9
	v_add_f32_e32 v1, v1, v10
	v_fmac_f32_e32 v14, 0x3ee1c552, v9
	v_fmac_f32_e32 v13, 0x3ee1c552, v9
	s_waitcnt lgkmcnt(0)
	v_sub_f32_e32 v9, v8, v41
	v_add_f32_e32 v8, v41, v8
	v_sub_f32_e32 v10, v1, v14
	v_add_f32_e32 v44, v13, v43
	;; [unrolled: 2-line block ×3, first 2 shown]
	s_barrier
	buffer_gl0_inv
	ds_write2_b32 v39, v19, v9 offset1:11
	ds_write2_b32 v39, v10, v44 offset0:22 offset1:33
	ds_write2_b32 v39, v13, v1 offset0:44 offset1:55
	ds_write_b32 v39, v8 offset:264
	s_and_saveexec_b32 s1, s0
	s_cbranch_execz .LBB0_18
; %bb.17:
	v_add_f32_e32 v1, v12, v42
	v_add_f32_e32 v8, v15, v17
	;; [unrolled: 1-line block ×3, first 2 shown]
	v_sub_f32_e32 v2, v2, v6
	v_sub_f32_e32 v3, v4, v3
	;; [unrolled: 1-line block ×3, first 2 shown]
	v_add_f32_e32 v4, v8, v1
	v_sub_f32_e32 v6, v8, v1
	v_sub_f32_e32 v1, v1, v9
	;; [unrolled: 1-line block ×3, first 2 shown]
	v_add_f32_e32 v10, v3, v2
	v_add_f32_e32 v4, v9, v4
	v_sub_f32_e32 v9, v3, v2
	v_sub_f32_e32 v3, v7, v3
	;; [unrolled: 1-line block ×3, first 2 shown]
	v_add_f32_e32 v7, v10, v7
	v_add_f32_e32 v5, v5, v4
	v_mul_f32_e32 v1, 0x3f4a47b2, v1
	v_mul_f32_e32 v10, 0x3d64c772, v8
	;; [unrolled: 1-line block ×4, first 2 shown]
	v_fmamk_f32 v4, v4, 0xbf955555, v5
	v_fmamk_f32 v8, v8, 0x3d64c772, v1
	v_fma_f32 v10, 0x3f3bfb3b, v6, -v10
	v_fma_f32 v1, 0xbf3bfb3b, v6, -v1
	v_fmamk_f32 v6, v3, 0x3eae86e6, v9
	v_fma_f32 v2, 0x3f5ff5aa, v2, -v9
	v_fma_f32 v3, 0xbeae86e6, v3, -v11
	v_add_f32_e32 v8, v8, v4
	v_add_f32_e32 v9, v10, v4
	;; [unrolled: 1-line block ×3, first 2 shown]
	v_mov_b32_e32 v4, 2
	v_fmac_f32_e32 v6, 0x3ee1c552, v7
	v_fmac_f32_e32 v2, 0x3ee1c552, v7
	;; [unrolled: 1-line block ×3, first 2 shown]
	v_mad_u32_u24 v7, 0x134, v37, 0
	v_lshlrev_b32_sdwa v4, v4, v34 dst_sel:DWORD dst_unused:UNUSED_PAD src0_sel:DWORD src1_sel:BYTE_0
	v_sub_f32_e32 v10, v8, v6
	v_add_f32_e32 v12, v2, v9
	v_sub_f32_e32 v11, v1, v3
	v_sub_f32_e32 v2, v9, v2
	v_add3_u32 v4, v7, v4, v35
	v_add_f32_e32 v1, v3, v1
	v_add_f32_e32 v3, v6, v8
	ds_write2_b32 v4, v5, v10 offset1:11
	ds_write2_b32 v4, v11, v12 offset0:22 offset1:33
	ds_write2_b32 v4, v2, v1 offset0:44 offset1:55
	ds_write_b32 v4, v3 offset:264
.LBB0_18:
	s_or_b32 exec_lo, exec_lo, s1
	s_waitcnt lgkmcnt(0)
	s_barrier
	buffer_gl0_inv
	s_and_saveexec_b32 s0, vcc_lo
	s_cbranch_execz .LBB0_20
; %bb.19:
	v_mul_u32_u24_e32 v0, 10, v0
	v_add_nc_u32_e32 v37, 0xa00, v40
	v_add_nc_u32_e32 v43, 0x800, v40
	;; [unrolled: 1-line block ×4, first 2 shown]
	v_lshlrev_b32_e32 v0, 3, v0
	v_add_co_u32 v20, vcc_lo, s2, v20
	v_add_co_ci_u32_e32 v21, vcc_lo, s3, v21, vcc_lo
	s_clause 0x4
	global_load_dwordx4 v[4:7], v0, s[8:9] offset:592
	global_load_dwordx4 v[16:19], v0, s[8:9] offset:528
	;; [unrolled: 1-line block ×5, first 2 shown]
	ds_read2_b32 v[34:35], v40 offset0:77 offset1:154
	v_lshlrev_b64 v[39:40], 3, v[22:23]
	ds_read2_b32 v[22:23], v37 offset0:53 offset1:130
	ds_read_b32 v37, v38
	ds_read2_b32 v[41:42], v41 offset0:103 offset1:180
	ds_read2_b32 v[43:44], v43 offset0:27 offset1:104
	v_add_co_u32 v20, vcc_lo, v20, v39
	ds_read2_b32 v[38:39], v45 offset0:129 offset1:206
	v_add_co_ci_u32_e32 v21, vcc_lo, v21, v40, vcc_lo
	v_add_co_u32 v45, vcc_lo, 0x800, v20
	v_add_co_ci_u32_e32 v46, vcc_lo, 0, v21, vcc_lo
	s_waitcnt vmcnt(4)
	v_mul_f32_e32 v40, v33, v7
	s_waitcnt vmcnt(3)
	v_mul_f32_e32 v47, v30, v17
	s_waitcnt lgkmcnt(5)
	v_mul_f32_e32 v17, v34, v17
	s_waitcnt lgkmcnt(4)
	v_mul_f32_e32 v7, v23, v7
	v_mul_f32_e32 v48, v32, v5
	v_mul_f32_e32 v49, v31, v19
	v_mul_f32_e32 v19, v35, v19
	v_mul_f32_e32 v5, v22, v5
	s_waitcnt vmcnt(2)
	v_mul_f32_e32 v50, v29, v11
	s_waitcnt vmcnt(1)
	v_mul_f32_e32 v51, v26, v13
	s_waitcnt lgkmcnt(2)
	v_mul_f32_e32 v13, v41, v13
	s_waitcnt lgkmcnt(1)
	v_mul_f32_e32 v11, v44, v11
	v_mul_f32_e32 v52, v28, v9
	;; [unrolled: 1-line block ×5, first 2 shown]
	s_waitcnt vmcnt(0)
	v_mul_f32_e32 v54, v25, v3
	v_mul_f32_e32 v55, v24, v1
	s_waitcnt lgkmcnt(0)
	v_mul_f32_e32 v1, v38, v1
	v_mul_f32_e32 v3, v39, v3
	v_fmac_f32_e32 v40, v23, v6
	v_fmac_f32_e32 v48, v22, v4
	;; [unrolled: 1-line block ×4, first 2 shown]
	v_fma_f32 v16, v30, v16, -v17
	v_fma_f32 v30, v33, v6, -v7
	v_fma_f32 v6, v31, v18, -v19
	v_fma_f32 v31, v32, v4, -v5
	v_fma_f32 v4, v26, v12, -v13
	v_fma_f32 v22, v29, v10, -v11
	v_fmac_f32_e32 v52, v43, v8
	v_fmac_f32_e32 v53, v42, v14
	v_fma_f32 v5, v27, v14, -v15
	v_fma_f32 v7, v28, v8, -v9
	v_fmac_f32_e32 v54, v39, v2
	v_fmac_f32_e32 v55, v38, v0
	v_fma_f32 v8, v24, v0, -v1
	v_fma_f32 v9, v25, v2, -v3
	v_fmac_f32_e32 v50, v44, v10
	v_fmac_f32_e32 v51, v41, v12
	v_sub_f32_e32 v1, v16, v30
	v_add_f32_e32 v2, v48, v49
	v_sub_f32_e32 v3, v6, v31
	v_sub_f32_e32 v11, v4, v22
	v_add_f32_e32 v12, v52, v53
	v_sub_f32_e32 v13, v5, v7
	v_add_f32_e32 v14, v54, v55
	v_sub_f32_e32 v15, v8, v9
	v_sub_f32_e32 v17, v47, v40
	v_add_f32_e32 v18, v30, v16
	v_add_f32_e32 v19, v37, v47
	;; [unrolled: 1-line block ×5, first 2 shown]
	v_sub_f32_e32 v23, v49, v48
	v_add_f32_e32 v24, v31, v6
	v_sub_f32_e32 v25, v51, v50
	v_sub_f32_e32 v27, v53, v52
	;; [unrolled: 1-line block ×3, first 2 shown]
	v_mul_f32_e32 v34, 0xbf27a4f4, v2
	v_mul_f32_e32 v39, 0xbf75a155, v2
	;; [unrolled: 1-line block ×18, first 2 shown]
	v_add_f32_e32 v19, v19, v49
	v_add_f32_e32 v6, v16, v6
	;; [unrolled: 1-line block ×5, first 2 shown]
	v_mul_f32_e32 v33, 0x3ed4b147, v0
	v_mul_f32_e32 v35, 0xbf75a155, v10
	;; [unrolled: 1-line block ×32, first 2 shown]
	v_fmamk_f32 v90, v3, 0x3f4178ce, v34
	v_fmamk_f32 v93, v3, 0xbe903f40, v39
	;; [unrolled: 1-line block ×5, first 2 shown]
	v_fmac_f32_e32 v44, 0x3f7d64f0, v3
	v_fmac_f32_e32 v39, 0x3e903f40, v3
	v_fmac_f32_e32 v34, 0xbf4178ce, v3
	v_fmamk_f32 v101, v10, 0xbf27a4f4, v59
	v_fmamk_f32 v102, v2, 0x3ed4b147, v61
	v_fma_f32 v58, 0x3f575c64, v2, -v58
	v_fma_f32 v61, 0x3ed4b147, v2, -v61
	v_fmamk_f32 v103, v10, 0xbe11bafb, v62
	v_fma_f32 v59, 0xbf27a4f4, v10, -v59
	v_fma_f32 v10, 0xbe11bafb, v10, -v62
	v_fmamk_f32 v62, v13, 0x3e903f40, v56
	v_fmac_f32_e32 v56, 0xbe903f40, v13
	v_fmac_f32_e32 v42, 0xbf0a6770, v13
	v_fmamk_f32 v104, v13, 0xbf7d64f0, v63
	v_fmac_f32_e32 v63, 0x3f7d64f0, v13
	v_fmamk_f32 v13, v12, 0x3ed4b147, v64
	v_fma_f32 v64, 0x3ed4b147, v12, -v64
	v_fmamk_f32 v105, v12, 0xbf27a4f4, v65
	v_fma_f32 v12, 0xbf27a4f4, v12, -v65
	v_fmamk_f32 v65, v15, 0xbf68dda4, v66
	v_fmac_f32_e32 v66, 0x3f68dda4, v15
	v_fmamk_f32 v106, v15, 0x3f4178ce, v67
	v_fmac_f32_e32 v67, 0xbf4178ce, v15
	;; [unrolled: 2-line block ×3, first 2 shown]
	v_fmamk_f32 v15, v14, 0xbe11bafb, v69
	v_fma_f32 v69, 0xbe11bafb, v14, -v69
	v_fmamk_f32 v108, v14, 0xbf75a155, v70
	v_fma_f32 v70, 0xbf75a155, v14, -v70
	v_fmamk_f32 v14, v18, 0xbf27a4f4, v73
	v_add_f32_e32 v2, v19, v51
	v_add_f32_e32 v3, v6, v4
	v_fmamk_f32 v89, v1, 0x3f68dda4, v33
	v_fmamk_f32 v91, v11, 0xbe903f40, v35
	;; [unrolled: 1-line block ×7, first 2 shown]
	v_fmac_f32_e32 v43, 0xbf4178ce, v1
	v_fmac_f32_e32 v38, 0xbf7d64f0, v1
	;; [unrolled: 1-line block ×6, first 2 shown]
	v_fmamk_f32 v11, v0, 0x3f575c64, v60
	v_fma_f32 v57, 0xbf75a155, v0, -v57
	v_fma_f32 v60, 0x3f575c64, v0, -v60
	v_fma_f32 v73, 0xbf27a4f4, v18, -v73
	v_fmamk_f32 v109, v18, 0xbe11bafb, v72
	v_fma_f32 v72, 0xbe11bafb, v18, -v72
	v_fmamk_f32 v110, v18, 0x3ed4b147, v71
	v_fma_f32 v71, 0x3ed4b147, v18, -v71
	v_fma_f32 v111, 0xbf75a155, v18, -v74
	v_fmac_f32_e32 v74, 0xbf75a155, v18
	v_fma_f32 v112, 0x3f575c64, v18, -v17
	v_fmac_f32_e32 v17, 0x3f575c64, v18
	v_fmamk_f32 v18, v24, 0xbe11bafb, v16
	v_fma_f32 v16, 0xbe11bafb, v24, -v16
	v_fmamk_f32 v113, v24, 0xbf75a155, v75
	v_fma_f32 v75, 0xbf75a155, v24, -v75
	v_fmamk_f32 v114, v24, 0xbf27a4f4, v49
	v_fma_f32 v49, 0xbf27a4f4, v24, -v49
	v_fma_f32 v115, 0x3f575c64, v24, -v76
	v_fmac_f32_e32 v76, 0x3f575c64, v24
	v_fma_f32 v116, 0x3ed4b147, v24, -v23
	v_fmac_f32_e32 v23, 0x3ed4b147, v24
	v_fmamk_f32 v4, v26, 0x3f575c64, v77
	v_fma_f32 v6, 0x3f575c64, v26, -v77
	;; [unrolled: 10-line block ×4, first 2 shown]
	v_fmamk_f32 v121, v32, 0xbf27a4f4, v86
	v_fma_f32 v86, 0xbf27a4f4, v32, -v86
	v_fmamk_f32 v122, v32, 0x3f575c64, v85
	v_fma_f32 v85, 0x3f575c64, v32, -v85
	v_fma_f32 v123, 0xbe11bafb, v32, -v88
	v_fmac_f32_e32 v88, 0xbe11bafb, v32
	v_fma_f32 v124, 0xbf75a155, v32, -v29
	v_fmac_f32_e32 v29, 0xbf75a155, v32
	v_add_f32_e32 v32, v2, v53
	v_add_f32_e32 v5, v3, v5
	;; [unrolled: 1-line block ×90, first 2 shown]
	v_add_co_u32 v0, vcc_lo, 0x1000, v20
	v_add_f32_e32 v44, v10, v12
	v_add_f32_e32 v6, v19, v121
	v_add_f32_e32 v11, v13, v15
	v_add_f32_e32 v10, v14, v123
	v_add_f32_e32 v13, v18, v66
	v_add_f32_e32 v14, v24, v86
	v_add_f32_e32 v19, v39, v108
	v_add_f32_e32 v18, v35, v124
	v_add_f32_e32 v24, v27, v29
	v_add_f32_e32 v26, v48, v26
	v_add_f32_e32 v27, v31, v28
	v_add_f32_e32 v5, v23, v107
	v_add_f32_e32 v15, v16, v67
	v_add_f32_e32 v17, v33, v68
	v_add_f32_e32 v16, v34, v85
	v_add_f32_e32 v23, v42, v69
	v_add_f32_e32 v22, v43, v88
	v_add_co_ci_u32_e32 v1, vcc_lo, 0, v21, vcc_lo
	v_add_f32_e32 v9, v37, v65
	v_add_f32_e32 v7, v36, v106
	;; [unrolled: 1-line block ×3, first 2 shown]
	v_add_co_u32 v2, vcc_lo, 0x1800, v20
	v_add_f32_e32 v4, v25, v122
	global_store_dwordx2 v[20:21], v[18:19], off offset:616
	global_store_dwordx2 v[20:21], v[16:17], off offset:1232
	;; [unrolled: 1-line block ×5, first 2 shown]
	v_add_f32_e32 v11, v40, v26
	v_add_f32_e32 v10, v30, v27
	v_add_co_ci_u32_e32 v3, vcc_lo, 0, v21, vcc_lo
	v_add_f32_e32 v25, v44, v70
	global_store_dwordx2 v[45:46], v[22:23], off offset:1648
	global_store_dwordx2 v[0:1], v[8:9], off offset:216
	;; [unrolled: 1-line block ×4, first 2 shown]
	global_store_dwordx2 v[20:21], v[10:11], off
	global_store_dwordx2 v[2:3], v[24:25], off offset:16
.LBB0_20:
	s_endpgm
	.section	.rodata,"a",@progbits
	.p2align	6, 0x0
	.amdhsa_kernel fft_rtc_fwd_len847_factors_11_7_11_wgs_231_tpt_77_halfLds_sp_ip_CI_unitstride_sbrr_dirReg
		.amdhsa_group_segment_fixed_size 0
		.amdhsa_private_segment_fixed_size 0
		.amdhsa_kernarg_size 88
		.amdhsa_user_sgpr_count 6
		.amdhsa_user_sgpr_private_segment_buffer 1
		.amdhsa_user_sgpr_dispatch_ptr 0
		.amdhsa_user_sgpr_queue_ptr 0
		.amdhsa_user_sgpr_kernarg_segment_ptr 1
		.amdhsa_user_sgpr_dispatch_id 0
		.amdhsa_user_sgpr_flat_scratch_init 0
		.amdhsa_user_sgpr_private_segment_size 0
		.amdhsa_wavefront_size32 1
		.amdhsa_uses_dynamic_stack 0
		.amdhsa_system_sgpr_private_segment_wavefront_offset 0
		.amdhsa_system_sgpr_workgroup_id_x 1
		.amdhsa_system_sgpr_workgroup_id_y 0
		.amdhsa_system_sgpr_workgroup_id_z 0
		.amdhsa_system_sgpr_workgroup_info 0
		.amdhsa_system_vgpr_workitem_id 0
		.amdhsa_next_free_vgpr 125
		.amdhsa_next_free_sgpr 21
		.amdhsa_reserve_vcc 1
		.amdhsa_reserve_flat_scratch 0
		.amdhsa_float_round_mode_32 0
		.amdhsa_float_round_mode_16_64 0
		.amdhsa_float_denorm_mode_32 3
		.amdhsa_float_denorm_mode_16_64 3
		.amdhsa_dx10_clamp 1
		.amdhsa_ieee_mode 1
		.amdhsa_fp16_overflow 0
		.amdhsa_workgroup_processor_mode 1
		.amdhsa_memory_ordered 1
		.amdhsa_forward_progress 0
		.amdhsa_shared_vgpr_count 0
		.amdhsa_exception_fp_ieee_invalid_op 0
		.amdhsa_exception_fp_denorm_src 0
		.amdhsa_exception_fp_ieee_div_zero 0
		.amdhsa_exception_fp_ieee_overflow 0
		.amdhsa_exception_fp_ieee_underflow 0
		.amdhsa_exception_fp_ieee_inexact 0
		.amdhsa_exception_int_div_zero 0
	.end_amdhsa_kernel
	.text
.Lfunc_end0:
	.size	fft_rtc_fwd_len847_factors_11_7_11_wgs_231_tpt_77_halfLds_sp_ip_CI_unitstride_sbrr_dirReg, .Lfunc_end0-fft_rtc_fwd_len847_factors_11_7_11_wgs_231_tpt_77_halfLds_sp_ip_CI_unitstride_sbrr_dirReg
                                        ; -- End function
	.section	.AMDGPU.csdata,"",@progbits
; Kernel info:
; codeLenInByte = 7968
; NumSgprs: 23
; NumVgprs: 125
; ScratchSize: 0
; MemoryBound: 0
; FloatMode: 240
; IeeeMode: 1
; LDSByteSize: 0 bytes/workgroup (compile time only)
; SGPRBlocks: 2
; VGPRBlocks: 15
; NumSGPRsForWavesPerEU: 23
; NumVGPRsForWavesPerEU: 125
; Occupancy: 8
; WaveLimiterHint : 1
; COMPUTE_PGM_RSRC2:SCRATCH_EN: 0
; COMPUTE_PGM_RSRC2:USER_SGPR: 6
; COMPUTE_PGM_RSRC2:TRAP_HANDLER: 0
; COMPUTE_PGM_RSRC2:TGID_X_EN: 1
; COMPUTE_PGM_RSRC2:TGID_Y_EN: 0
; COMPUTE_PGM_RSRC2:TGID_Z_EN: 0
; COMPUTE_PGM_RSRC2:TIDIG_COMP_CNT: 0
	.text
	.p2alignl 6, 3214868480
	.fill 48, 4, 3214868480
	.type	__hip_cuid_1fb66075786b3be9,@object ; @__hip_cuid_1fb66075786b3be9
	.section	.bss,"aw",@nobits
	.globl	__hip_cuid_1fb66075786b3be9
__hip_cuid_1fb66075786b3be9:
	.byte	0                               ; 0x0
	.size	__hip_cuid_1fb66075786b3be9, 1

	.ident	"AMD clang version 19.0.0git (https://github.com/RadeonOpenCompute/llvm-project roc-6.4.0 25133 c7fe45cf4b819c5991fe208aaa96edf142730f1d)"
	.section	".note.GNU-stack","",@progbits
	.addrsig
	.addrsig_sym __hip_cuid_1fb66075786b3be9
	.amdgpu_metadata
---
amdhsa.kernels:
  - .args:
      - .actual_access:  read_only
        .address_space:  global
        .offset:         0
        .size:           8
        .value_kind:     global_buffer
      - .offset:         8
        .size:           8
        .value_kind:     by_value
      - .actual_access:  read_only
        .address_space:  global
        .offset:         16
        .size:           8
        .value_kind:     global_buffer
      - .actual_access:  read_only
        .address_space:  global
        .offset:         24
        .size:           8
        .value_kind:     global_buffer
      - .offset:         32
        .size:           8
        .value_kind:     by_value
      - .actual_access:  read_only
        .address_space:  global
        .offset:         40
        .size:           8
        .value_kind:     global_buffer
      - .actual_access:  read_only
        .address_space:  global
        .offset:         48
        .size:           8
        .value_kind:     global_buffer
      - .offset:         56
        .size:           4
        .value_kind:     by_value
      - .actual_access:  read_only
        .address_space:  global
        .offset:         64
        .size:           8
        .value_kind:     global_buffer
      - .actual_access:  read_only
        .address_space:  global
        .offset:         72
        .size:           8
        .value_kind:     global_buffer
      - .address_space:  global
        .offset:         80
        .size:           8
        .value_kind:     global_buffer
    .group_segment_fixed_size: 0
    .kernarg_segment_align: 8
    .kernarg_segment_size: 88
    .language:       OpenCL C
    .language_version:
      - 2
      - 0
    .max_flat_workgroup_size: 231
    .name:           fft_rtc_fwd_len847_factors_11_7_11_wgs_231_tpt_77_halfLds_sp_ip_CI_unitstride_sbrr_dirReg
    .private_segment_fixed_size: 0
    .sgpr_count:     23
    .sgpr_spill_count: 0
    .symbol:         fft_rtc_fwd_len847_factors_11_7_11_wgs_231_tpt_77_halfLds_sp_ip_CI_unitstride_sbrr_dirReg.kd
    .uniform_work_group_size: 1
    .uses_dynamic_stack: false
    .vgpr_count:     125
    .vgpr_spill_count: 0
    .wavefront_size: 32
    .workgroup_processor_mode: 1
amdhsa.target:   amdgcn-amd-amdhsa--gfx1030
amdhsa.version:
  - 1
  - 2
...

	.end_amdgpu_metadata
